;; amdgpu-corpus repo=ROCm/rocFFT kind=compiled arch=gfx906 opt=O3
	.text
	.amdgcn_target "amdgcn-amd-amdhsa--gfx906"
	.amdhsa_code_object_version 6
	.protected	bluestein_single_back_len1225_dim1_sp_op_CI_CI ; -- Begin function bluestein_single_back_len1225_dim1_sp_op_CI_CI
	.globl	bluestein_single_back_len1225_dim1_sp_op_CI_CI
	.p2align	8
	.type	bluestein_single_back_len1225_dim1_sp_op_CI_CI,@function
bluestein_single_back_len1225_dim1_sp_op_CI_CI: ; @bluestein_single_back_len1225_dim1_sp_op_CI_CI
; %bb.0:
	s_load_dwordx4 s[0:3], s[4:5], 0x28
	v_mul_u32_u24_e32 v1, 0x177, v0
	v_add_u32_sdwa v62, s6, v1 dst_sel:DWORD dst_unused:UNUSED_PAD src0_sel:DWORD src1_sel:WORD_1
	v_mov_b32_e32 v63, 0
	s_waitcnt lgkmcnt(0)
	v_cmp_gt_u64_e32 vcc, s[0:1], v[62:63]
	s_and_saveexec_b64 s[0:1], vcc
	s_cbranch_execz .LBB0_23
; %bb.1:
	s_load_dwordx4 s[8:11], s[4:5], 0x18
	s_movk_i32 s0, 0xaf
	v_mul_lo_u16_sdwa v1, v1, s0 dst_sel:DWORD dst_unused:UNUSED_PAD src0_sel:WORD_1 src1_sel:DWORD
	v_sub_u16_e32 v76, v0, v1
	v_lshlrev_b32_e32 v75, 3, v76
	s_waitcnt lgkmcnt(0)
	s_load_dwordx4 s[12:15], s[8:9], 0x0
	s_load_dwordx2 s[6:7], s[4:5], 0x38
	s_waitcnt lgkmcnt(0)
	v_mad_u64_u32 v[0:1], s[0:1], s14, v62, 0
	v_mad_u64_u32 v[2:3], s[0:1], s12, v76, 0
	;; [unrolled: 1-line block ×3, first 2 shown]
	s_load_dwordx2 s[14:15], s[4:5], 0x0
	v_mad_u64_u32 v[5:6], s[0:1], s13, v76, v[3:4]
	v_mov_b32_e32 v1, v4
	v_lshlrev_b64 v[0:1], 3, v[0:1]
	v_mov_b32_e32 v6, s3
	v_mov_b32_e32 v3, v5
	v_add_co_u32_e32 v4, vcc, s2, v0
	v_addc_co_u32_e32 v5, vcc, v6, v1, vcc
	v_lshlrev_b64 v[0:1], 3, v[2:3]
	s_mul_i32 s0, s13, 0xf5
	s_mul_hi_u32 s1, s12, 0xf5
	v_add_co_u32_e32 v0, vcc, v4, v0
	s_waitcnt lgkmcnt(0)
	v_mov_b32_e32 v2, s15
	v_add_co_u32_e64 v60, s[2:3], s14, v75
	s_add_i32 s1, s1, s0
	s_mul_i32 s0, s12, 0xf5
	v_addc_co_u32_e32 v1, vcc, v5, v1, vcc
	v_addc_co_u32_e64 v61, vcc, 0, v2, s[2:3]
	s_lshl_b64 s[16:17], s[0:1], 3
	global_load_dwordx2 v[4:5], v[0:1], off
	v_mov_b32_e32 v8, s17
	v_add_co_u32_e32 v0, vcc, s16, v0
	v_addc_co_u32_e32 v1, vcc, v1, v8, vcc
	v_add_co_u32_e32 v2, vcc, s16, v0
	v_addc_co_u32_e32 v3, vcc, v1, v8, vcc
	;; [unrolled: 2-line block ×3, first 2 shown]
	s_movk_i32 s0, 0x1000
	global_load_dwordx2 v[71:72], v75, s[14:15]
	global_load_dwordx2 v[69:70], v75, s[14:15] offset:1960
	global_load_dwordx2 v[67:68], v75, s[14:15] offset:3920
	global_load_dwordx2 v[9:10], v[0:1], off
	global_load_dwordx2 v[11:12], v[2:3], off
	;; [unrolled: 1-line block ×3, first 2 shown]
	v_add_co_u32_e32 v0, vcc, s0, v60
	v_addc_co_u32_e32 v1, vcc, 0, v61, vcc
	v_add_co_u32_e32 v2, vcc, s16, v6
	global_load_dwordx2 v[65:66], v[0:1], off offset:1784
	v_addc_co_u32_e32 v3, vcc, v7, v8, vcc
	global_load_dwordx2 v[63:64], v[0:1], off offset:3744
	global_load_dwordx2 v[6:7], v[2:3], off
	s_load_dwordx4 s[8:11], s[10:11], 0x0
	s_movk_i32 s0, 0x46
	v_add_u32_e32 v8, 0xf00, v75
	v_cmp_gt_u16_e64 s[0:1], s0, v76
	s_waitcnt vmcnt(8)
	v_mul_f32_e32 v15, v5, v72
	v_mul_f32_e32 v16, v4, v72
	v_fmac_f32_e32 v15, v4, v71
	v_fma_f32 v16, v5, v71, -v16
	s_waitcnt vmcnt(5)
	v_mul_f32_e32 v4, v10, v70
	v_mul_f32_e32 v5, v9, v70
	v_fmac_f32_e32 v4, v9, v69
	v_fma_f32 v5, v10, v69, -v5
	s_waitcnt vmcnt(4)
	v_mul_f32_e32 v9, v12, v68
	v_mul_f32_e32 v10, v11, v68
	ds_write2_b64 v75, v[15:16], v[4:5] offset1:245
	v_fmac_f32_e32 v9, v11, v67
	v_fma_f32 v10, v12, v67, -v10
	s_waitcnt vmcnt(2)
	v_mul_f32_e32 v4, v14, v66
	v_mul_f32_e32 v5, v13, v66
	s_waitcnt vmcnt(0)
	v_mul_f32_e32 v11, v7, v64
	v_mul_f32_e32 v12, v6, v64
	v_fmac_f32_e32 v4, v13, v65
	v_fma_f32 v5, v14, v65, -v5
	v_fmac_f32_e32 v11, v6, v63
	v_fma_f32 v12, v7, v63, -v12
	ds_write2_b64 v8, v[9:10], v[4:5] offset0:10 offset1:255
	ds_write_b64 v75, v[11:12] offset:7840
	s_and_saveexec_b64 s[18:19], s[0:1]
	s_cbranch_execz .LBB0_3
; %bb.2:
	v_mov_b32_e32 v4, 0xffffe6d8
	v_mad_u64_u32 v[2:3], s[20:21], s12, v4, v[2:3]
	s_mulk_i32 s13, 0xe6d8
	s_sub_i32 s12, s13, s12
	v_add_u32_e32 v3, s12, v3
	global_load_dwordx2 v[4:5], v[2:3], off
	global_load_dwordx2 v[6:7], v[60:61], off offset:1400
	v_mov_b32_e32 v21, s17
	v_add_co_u32_e32 v2, vcc, s16, v2
	v_addc_co_u32_e32 v3, vcc, v3, v21, vcc
	global_load_dwordx2 v[9:10], v[2:3], off
	v_add_co_u32_e32 v2, vcc, s16, v2
	v_addc_co_u32_e32 v3, vcc, v3, v21, vcc
	global_load_dwordx2 v[11:12], v[2:3], off
	;; [unrolled: 3-line block ×3, first 2 shown]
	global_load_dwordx2 v[15:16], v[60:61], off offset:3360
	global_load_dwordx2 v[17:18], v[0:1], off offset:1224
	;; [unrolled: 1-line block ×3, first 2 shown]
	v_add_co_u32_e32 v0, vcc, s16, v2
	v_addc_co_u32_e32 v1, vcc, v3, v21, vcc
	v_add_co_u32_e32 v2, vcc, 0x2000, v60
	v_addc_co_u32_e32 v3, vcc, 0, v61, vcc
	global_load_dwordx2 v[21:22], v[2:3], off offset:1048
	global_load_dwordx2 v[23:24], v[0:1], off
	v_add_u32_e32 v25, 0x540, v75
	v_add_u32_e32 v26, 0x1480, v75
	s_waitcnt vmcnt(8)
	v_mul_f32_e32 v0, v5, v7
	v_mul_f32_e32 v1, v4, v7
	v_fmac_f32_e32 v0, v4, v6
	v_fma_f32 v1, v5, v6, -v1
	s_waitcnt vmcnt(4)
	v_mul_f32_e32 v2, v10, v16
	v_mul_f32_e32 v3, v9, v16
	v_fmac_f32_e32 v2, v9, v15
	v_fma_f32 v3, v10, v15, -v3
	s_waitcnt vmcnt(3)
	v_mul_f32_e32 v4, v12, v18
	v_mul_f32_e32 v5, v11, v18
	ds_write2_b64 v25, v[0:1], v[2:3] offset0:7 offset1:252
	s_waitcnt vmcnt(2)
	v_mul_f32_e32 v0, v14, v20
	v_mul_f32_e32 v1, v13, v20
	v_fmac_f32_e32 v4, v11, v17
	v_fma_f32 v5, v12, v17, -v5
	s_waitcnt vmcnt(0)
	v_mul_f32_e32 v2, v24, v22
	v_mul_f32_e32 v3, v23, v22
	v_fmac_f32_e32 v0, v13, v19
	v_fma_f32 v1, v14, v19, -v1
	v_fmac_f32_e32 v2, v23, v21
	v_fma_f32 v3, v24, v21, -v3
	ds_write2_b64 v26, v[4:5], v[0:1] offset0:9 offset1:254
	ds_write_b64 v75, v[2:3] offset:9240
.LBB0_3:
	s_or_b64 exec, exec, s[18:19]
	s_waitcnt lgkmcnt(0)
	s_barrier
	ds_read2_b64 v[4:7], v75 offset1:245
	ds_read2_b64 v[8:11], v8 offset0:10 offset1:255
	ds_read_b64 v[14:15], v75 offset:7840
                                        ; implicit-def: $vgpr20
                                        ; implicit-def: $vgpr0
                                        ; implicit-def: $vgpr12
	s_and_saveexec_b64 s[12:13], s[0:1]
	s_cbranch_execz .LBB0_5
; %bb.4:
	v_add_u32_e32 v0, 0x540, v75
	ds_read2_b64 v[20:23], v0 offset0:7 offset1:252
	v_add_u32_e32 v0, 0x1480, v75
	ds_read2_b64 v[0:3], v0 offset0:9 offset1:254
	ds_read_b64 v[12:13], v75 offset:9240
.LBB0_5:
	s_or_b64 exec, exec, s[12:13]
	s_waitcnt lgkmcnt(2)
	v_add_f32_e32 v16, v4, v6
	s_waitcnt lgkmcnt(1)
	v_add_f32_e32 v16, v16, v8
	v_add_f32_e32 v16, v16, v10
	s_waitcnt lgkmcnt(0)
	v_add_f32_e32 v26, v16, v14
	v_add_f32_e32 v16, v8, v10
	v_fma_f32 v28, -0.5, v16, v4
	v_sub_f32_e32 v16, v7, v15
	v_mov_b32_e32 v30, v28
	v_fmac_f32_e32 v30, 0x3f737871, v16
	v_sub_f32_e32 v17, v9, v11
	v_sub_f32_e32 v18, v6, v8
	;; [unrolled: 1-line block ×3, first 2 shown]
	v_fmac_f32_e32 v28, 0xbf737871, v16
	v_fmac_f32_e32 v30, 0x3f167918, v17
	v_add_f32_e32 v18, v18, v19
	v_fmac_f32_e32 v28, 0xbf167918, v17
	v_fmac_f32_e32 v30, 0x3e9e377a, v18
	;; [unrolled: 1-line block ×3, first 2 shown]
	v_add_f32_e32 v18, v6, v14
	v_fma_f32 v4, -0.5, v18, v4
	v_mov_b32_e32 v32, v4
	v_fmac_f32_e32 v32, 0xbf737871, v17
	v_fmac_f32_e32 v4, 0x3f737871, v17
	;; [unrolled: 1-line block ×4, first 2 shown]
	v_add_f32_e32 v16, v5, v7
	v_add_f32_e32 v16, v16, v9
	;; [unrolled: 1-line block ×5, first 2 shown]
	v_fma_f32 v29, -0.5, v16, v5
	v_sub_f32_e32 v18, v8, v6
	v_sub_f32_e32 v6, v6, v14
	v_mov_b32_e32 v31, v29
	v_sub_f32_e32 v19, v10, v14
	v_fmac_f32_e32 v31, 0xbf737871, v6
	v_sub_f32_e32 v8, v8, v10
	v_sub_f32_e32 v10, v7, v9
	;; [unrolled: 1-line block ×3, first 2 shown]
	v_fmac_f32_e32 v29, 0x3f737871, v6
	v_fmac_f32_e32 v31, 0xbf167918, v8
	v_add_f32_e32 v10, v10, v14
	v_fmac_f32_e32 v29, 0x3f167918, v8
	v_fmac_f32_e32 v31, 0x3e9e377a, v10
	;; [unrolled: 1-line block ×3, first 2 shown]
	v_add_f32_e32 v10, v7, v15
	v_fma_f32 v5, -0.5, v10, v5
	v_mov_b32_e32 v33, v5
	v_fmac_f32_e32 v33, 0x3f737871, v8
	v_fmac_f32_e32 v5, 0xbf737871, v8
	;; [unrolled: 1-line block ×4, first 2 shown]
	v_add_f32_e32 v6, v20, v22
	v_add_f32_e32 v6, v6, v0
	;; [unrolled: 1-line block ×6, first 2 shown]
	v_sub_f32_e32 v7, v9, v7
	v_sub_f32_e32 v9, v11, v15
	v_fma_f32 v36, -0.5, v6, v20
	v_fmac_f32_e32 v32, 0x3e9e377a, v18
	v_fmac_f32_e32 v4, 0x3e9e377a, v18
	v_add_f32_e32 v7, v7, v9
	v_sub_f32_e32 v6, v23, v13
	v_mov_b32_e32 v18, v36
	v_fmac_f32_e32 v33, 0x3e9e377a, v7
	v_fmac_f32_e32 v5, 0x3e9e377a, v7
	;; [unrolled: 1-line block ×3, first 2 shown]
	v_sub_f32_e32 v7, v1, v3
	v_sub_f32_e32 v8, v22, v0
	;; [unrolled: 1-line block ×3, first 2 shown]
	v_fmac_f32_e32 v36, 0xbf737871, v6
	v_fmac_f32_e32 v18, 0x3f167918, v7
	v_add_f32_e32 v8, v8, v9
	v_fmac_f32_e32 v36, 0xbf167918, v7
	v_fmac_f32_e32 v18, 0x3e9e377a, v8
	;; [unrolled: 1-line block ×3, first 2 shown]
	v_add_f32_e32 v8, v22, v12
	v_fmac_f32_e32 v20, -0.5, v8
	v_mov_b32_e32 v24, v20
	v_fmac_f32_e32 v24, 0xbf737871, v7
	v_fmac_f32_e32 v20, 0x3f737871, v7
	;; [unrolled: 1-line block ×4, first 2 shown]
	v_add_f32_e32 v6, v21, v23
	v_add_f32_e32 v6, v6, v1
	;; [unrolled: 1-line block ×5, first 2 shown]
	v_fma_f32 v37, -0.5, v6, v21
	v_sub_f32_e32 v6, v22, v12
	v_mov_b32_e32 v19, v37
	v_sub_f32_e32 v8, v0, v22
	v_sub_f32_e32 v9, v2, v12
	v_fmac_f32_e32 v19, 0xbf737871, v6
	v_sub_f32_e32 v0, v0, v2
	v_sub_f32_e32 v2, v23, v1
	;; [unrolled: 1-line block ×3, first 2 shown]
	v_fmac_f32_e32 v37, 0x3f737871, v6
	v_fmac_f32_e32 v19, 0xbf167918, v0
	v_add_f32_e32 v2, v2, v7
	v_fmac_f32_e32 v37, 0x3f167918, v0
	v_fmac_f32_e32 v19, 0x3e9e377a, v2
	;; [unrolled: 1-line block ×3, first 2 shown]
	v_add_f32_e32 v2, v23, v13
	s_load_dwordx2 s[4:5], s[4:5], 0x8
	v_fmac_f32_e32 v21, -0.5, v2
	v_mov_b32_e32 v25, v21
	v_fmac_f32_e32 v25, 0x3f737871, v0
	v_sub_f32_e32 v1, v1, v23
	v_sub_f32_e32 v2, v3, v13
	v_fmac_f32_e32 v21, 0xbf737871, v0
	v_add_co_u32_e32 v38, vcc, 0xaf, v76
	v_add_f32_e32 v8, v8, v9
	v_fmac_f32_e32 v25, 0xbf167918, v6
	v_add_f32_e32 v1, v1, v2
	v_fmac_f32_e32 v21, 0x3f167918, v6
	v_mul_lo_u16_e32 v0, 5, v76
	v_fmac_f32_e32 v24, 0x3e9e377a, v8
	v_fmac_f32_e32 v20, 0x3e9e377a, v8
	;; [unrolled: 1-line block ×4, first 2 shown]
	v_lshlrev_b32_e32 v77, 3, v0
	v_mul_u32_u24_e32 v78, 5, v38
	s_waitcnt lgkmcnt(0)
	s_barrier
	ds_write2_b64 v77, v[26:27], v[30:31] offset1:1
	ds_write2_b64 v77, v[32:33], v[4:5] offset0:2 offset1:3
	ds_write_b64 v77, v[28:29] offset:32
	s_and_saveexec_b64 s[12:13], s[0:1]
	s_cbranch_execz .LBB0_7
; %bb.6:
	v_lshlrev_b32_e32 v2, 3, v78
	v_mov_b32_e32 v0, v20
	v_mov_b32_e32 v1, v21
	ds_write2_b64 v2, v[16:17], v[18:19] offset1:1
	ds_write2_b64 v2, v[24:25], v[0:1] offset0:2 offset1:3
	ds_write_b64 v2, v[36:37] offset:32
.LBB0_7:
	s_or_b64 exec, exec, s[12:13]
	v_add_u32_e32 v0, 0xf00, v75
	s_waitcnt lgkmcnt(0)
	s_barrier
	ds_read2_b64 v[28:31], v75 offset1:245
	ds_read2_b64 v[32:35], v0 offset0:10 offset1:255
	ds_read_b64 v[22:23], v75 offset:7840
	s_and_saveexec_b64 s[12:13], s[0:1]
	s_cbranch_execz .LBB0_9
; %bb.8:
	v_add_u32_e32 v1, 0x1480, v75
	v_add_u32_e32 v0, 0x540, v75
	ds_read2_b64 v[24:27], v1 offset0:9 offset1:254
	ds_read_b64 v[36:37], v75 offset:9240
	ds_read2_b64 v[16:19], v0 offset0:7 offset1:252
	s_waitcnt lgkmcnt(2)
	v_mov_b32_e32 v20, v26
	v_mov_b32_e32 v21, v27
.LBB0_9:
	s_or_b64 exec, exec, s[12:13]
	s_movk_i32 s12, 0xcd
	v_mul_lo_u16_sdwa v0, v76, s12 dst_sel:DWORD dst_unused:UNUSED_PAD src0_sel:BYTE_0 src1_sel:DWORD
	v_lshrrev_b16_e32 v41, 10, v0
	v_mul_lo_u16_e32 v0, 5, v41
	v_sub_u16_e32 v0, v76, v0
	v_and_b32_e32 v42, 0xff, v0
	v_lshlrev_b32_e32 v0, 5, v42
	s_mov_b32 s12, 0xcccd
	global_load_dwordx4 v[12:15], v0, s[4:5]
	global_load_dwordx4 v[8:11], v0, s[4:5] offset:16
	v_mul_u32_u24_sdwa v0, v38, s12 dst_sel:DWORD dst_unused:UNUSED_PAD src0_sel:WORD_0 src1_sel:DWORD
	v_lshrrev_b32_e32 v44, 18, v0
	v_mul_lo_u16_e32 v0, 5, v44
	v_sub_u16_e32 v45, v38, v0
	v_lshlrev_b16_e32 v0, 2, v45
	v_lshlrev_b32_e32 v26, 3, v0
	global_load_dwordx4 v[0:3], v26, s[4:5]
	global_load_dwordx4 v[4:7], v26, s[4:5] offset:16
	s_waitcnt vmcnt(0) lgkmcnt(0)
	s_barrier
	v_mad_legacy_u16 v79, v44, 25, v45
	v_mul_f32_e32 v39, v33, v15
	v_mul_f32_e32 v40, v35, v9
	;; [unrolled: 1-line block ×9, first 2 shown]
	v_fma_f32 v39, v32, v14, -v39
	v_fma_f32 v40, v34, v8, -v40
	;; [unrolled: 1-line block ×3, first 2 shown]
	v_fmac_f32_e32 v50, v23, v10
	v_fma_f32 v23, v30, v12, -v51
	v_mul_f32_e32 v47, v25, v3
	v_mul_f32_e32 v27, v20, v5
	;; [unrolled: 1-line block ×3, first 2 shown]
	v_fmac_f32_e32 v43, v33, v14
	v_fmac_f32_e32 v46, v35, v8
	;; [unrolled: 1-line block ×4, first 2 shown]
	v_add_f32_e32 v25, v39, v40
	v_add_f32_e32 v33, v23, v22
	;; [unrolled: 1-line block ×3, first 2 shown]
	v_mul_f32_e32 v48, v21, v5
	v_mul_f32_e32 v38, v36, v7
	v_fmac_f32_e32 v27, v21, v4
	v_fma_f32 v21, v36, v6, -v53
	v_add_f32_e32 v30, v43, v46
	v_add_f32_e32 v34, v52, v50
	;; [unrolled: 1-line block ×3, first 2 shown]
	v_fma_f32 v31, -0.5, v25, v28
	v_fma_f32 v33, -0.5, v33, v28
	v_add_f32_e32 v28, v35, v39
	v_sub_f32_e32 v55, v52, v50
	v_fma_f32 v32, -0.5, v30, v29
	v_fma_f32 v34, -0.5, v34, v29
	v_add_f32_e32 v29, v36, v43
	v_add_f32_e32 v36, v28, v40
	v_mov_b32_e32 v28, v31
	v_fma_f32 v24, v24, v2, -v47
	v_fmac_f32_e32 v38, v37, v6
	v_sub_f32_e32 v37, v23, v39
	v_sub_f32_e32 v47, v22, v40
	;; [unrolled: 1-line block ×3, first 2 shown]
	v_fmac_f32_e32 v31, 0xbf737871, v55
	v_fmac_f32_e32 v28, 0x3f737871, v55
	v_fma_f32 v20, v20, v4, -v48
	v_sub_f32_e32 v48, v39, v23
	v_sub_f32_e32 v49, v40, v22
	;; [unrolled: 1-line block ×4, first 2 shown]
	v_add_f32_e32 v25, v37, v47
	v_add_f32_e32 v40, v29, v46
	v_mov_b32_e32 v29, v32
	v_add_f32_e32 v39, v36, v22
	v_fmac_f32_e32 v31, 0xbf167918, v56
	v_fmac_f32_e32 v28, 0x3f167918, v56
	v_mov_b32_e32 v36, v34
	v_sub_f32_e32 v51, v52, v43
	v_sub_f32_e32 v53, v50, v46
	v_fmac_f32_e32 v29, 0xbf737871, v23
	v_fmac_f32_e32 v31, 0x3e9e377a, v25
	;; [unrolled: 1-line block ×3, first 2 shown]
	v_sub_f32_e32 v22, v43, v52
	v_sub_f32_e32 v25, v46, v50
	v_fmac_f32_e32 v36, 0x3f737871, v54
	v_fmac_f32_e32 v34, 0xbf737871, v54
	v_add_f32_e32 v37, v51, v53
	v_fmac_f32_e32 v32, 0x3f737871, v23
	v_fmac_f32_e32 v29, 0xbf167918, v54
	v_add_f32_e32 v25, v22, v25
	v_mul_f32_e32 v22, v19, v1
	v_fmac_f32_e32 v36, 0xbf167918, v23
	v_fmac_f32_e32 v34, 0x3f167918, v23
	v_mul_u32_u24_e32 v23, 25, v41
	v_add_f32_e32 v40, v40, v50
	v_fmac_f32_e32 v29, 0x3e9e377a, v37
	v_fma_f32 v22, v18, v0, -v22
	v_add_lshl_u32 v80, v23, v42, 3
	ds_write2_b64 v80, v[39:40], v[28:29] offset1:5
	v_sub_f32_e32 v28, v22, v24
	v_sub_f32_e32 v29, v21, v20
	v_mov_b32_e32 v35, v33
	v_add_f32_e32 v28, v28, v29
	v_add_f32_e32 v29, v22, v21
	v_fmac_f32_e32 v33, 0x3f737871, v56
	v_fmac_f32_e32 v35, 0xbf737871, v56
	v_mul_f32_e32 v18, v18, v1
	v_fma_f32 v42, -0.5, v29, v16
	v_add_f32_e32 v30, v48, v49
	v_fmac_f32_e32 v33, 0xbf167918, v55
	v_fmac_f32_e32 v35, 0x3f167918, v55
	;; [unrolled: 1-line block ×5, first 2 shown]
	v_sub_f32_e32 v25, v26, v27
	v_mov_b32_e32 v40, v42
	v_fmac_f32_e32 v33, 0x3e9e377a, v30
	v_fmac_f32_e32 v35, 0x3e9e377a, v30
	v_sub_f32_e32 v23, v18, v38
	v_fmac_f32_e32 v40, 0xbf737871, v25
	v_sub_f32_e32 v29, v24, v22
	v_sub_f32_e32 v30, v20, v21
	v_fmac_f32_e32 v42, 0x3f737871, v25
	v_fmac_f32_e32 v40, 0x3f167918, v23
	v_add_f32_e32 v29, v29, v30
	v_fmac_f32_e32 v42, 0xbf167918, v23
	v_fmac_f32_e32 v32, 0x3f167918, v54
	;; [unrolled: 1-line block ×4, first 2 shown]
	v_sub_f32_e32 v29, v18, v26
	v_sub_f32_e32 v30, v38, v27
	v_fmac_f32_e32 v32, 0x3e9e377a, v37
	v_add_f32_e32 v29, v29, v30
	v_add_f32_e32 v30, v18, v38
	v_fma_f32 v43, -0.5, v30, v17
	ds_write_b64 v80, v[31:32] offset:160
	v_sub_f32_e32 v31, v26, v18
	v_sub_f32_e32 v32, v27, v38
	v_add_f32_e32 v32, v31, v32
	v_sub_f32_e32 v31, v24, v20
	v_mov_b32_e32 v41, v43
	v_sub_f32_e32 v30, v22, v21
	v_fmac_f32_e32 v41, 0x3f737871, v31
	v_fmac_f32_e32 v43, 0xbf737871, v31
	;; [unrolled: 1-line block ×4, first 2 shown]
	v_add_f32_e32 v19, v24, v20
	v_fmac_f32_e32 v41, 0x3e9e377a, v32
	v_fmac_f32_e32 v43, 0x3e9e377a, v32
	v_add_f32_e32 v32, v26, v27
	v_fma_f32 v19, -0.5, v19, v16
	v_fma_f32 v32, -0.5, v32, v17
	v_mov_b32_e32 v56, v19
	v_mov_b32_e32 v57, v32
	v_fmac_f32_e32 v56, 0xbf737871, v23
	v_fmac_f32_e32 v57, 0x3f737871, v30
	;; [unrolled: 1-line block ×6, first 2 shown]
	ds_write2_b64 v80, v[35:36], v[33:34] offset0:10 offset1:15
	s_and_saveexec_b64 s[12:13], s[0:1]
	s_cbranch_execz .LBB0_11
; %bb.10:
	v_mul_f32_e32 v23, 0x3f737871, v23
	v_mul_f32_e32 v33, 0x3e9e377a, v28
	;; [unrolled: 1-line block ×3, first 2 shown]
	v_add_f32_e32 v17, v17, v18
	v_add_f32_e32 v16, v16, v22
	v_mul_f32_e32 v25, 0x3f167918, v25
	v_mul_f32_e32 v30, 0x3f167918, v31
	v_sub_f32_e32 v28, v32, v28
	v_add_f32_e32 v17, v17, v26
	v_add_f32_e32 v18, v19, v23
	;; [unrolled: 1-line block ×3, first 2 shown]
	v_mul_f32_e32 v29, 0x3e9e377a, v29
	v_sub_f32_e32 v28, v28, v30
	v_add_f32_e32 v17, v17, v27
	v_add_f32_e32 v18, v25, v18
	;; [unrolled: 1-line block ×7, first 2 shown]
	v_lshlrev_b32_e32 v18, 3, v79
	ds_write2_b64 v18, v[16:17], v[27:28] offset1:5
	ds_write2_b64 v18, v[40:41], v[42:43] offset0:10 offset1:15
	ds_write_b64 v18, v[56:57] offset:160
.LBB0_11:
	s_or_b64 exec, exec, s[12:13]
	v_mov_b32_e32 v16, 41
	v_mul_lo_u16_sdwa v16, v76, v16 dst_sel:DWORD dst_unused:UNUSED_PAD src0_sel:BYTE_0 src1_sel:DWORD
	v_lshrrev_b16_e32 v46, 10, v16
	v_mul_lo_u16_e32 v16, 25, v46
	v_sub_u16_e32 v16, v76, v16
	v_and_b32_e32 v47, 0xff, v16
	v_mad_u64_u32 v[28:29], s[12:13], v47, 48, s[4:5]
	s_waitcnt lgkmcnt(0)
	s_barrier
	global_load_dwordx4 v[24:27], v[28:29], off offset:160
	global_load_dwordx4 v[20:23], v[28:29], off offset:176
	;; [unrolled: 1-line block ×3, first 2 shown]
	v_add_u32_e32 v73, 0xa00, v75
	v_add_u32_e32 v74, 0x1400, v75
	ds_read2_b64 v[28:31], v75 offset1:175
	ds_read_b64 v[44:45], v75 offset:8400
	ds_read2_b64 v[32:35], v73 offset0:30 offset1:205
	ds_read2_b64 v[36:39], v74 offset0:60 offset1:235
	s_mov_b32 s13, 0x3f3bfb3b
	s_mov_b32 s14, 0xbf3bfb3b
	s_mov_b32 s12, 0x3f5ff5aa
	s_mov_b32 s16, 0xbeae86e6
	v_mul_u32_u24_e32 v46, 0xaf, v46
	s_waitcnt vmcnt(0) lgkmcnt(0)
	s_barrier
	v_mul_f32_e32 v48, v31, v25
	v_mul_f32_e32 v49, v30, v25
	;; [unrolled: 1-line block ×12, first 2 shown]
	v_fma_f32 v30, v30, v24, -v48
	v_fmac_f32_e32 v49, v31, v24
	v_fma_f32 v31, v32, v26, -v50
	v_fmac_f32_e32 v51, v33, v26
	;; [unrolled: 2-line block ×6, first 2 shown]
	v_add_f32_e32 v36, v30, v35
	v_add_f32_e32 v37, v49, v82
	;; [unrolled: 1-line block ×4, first 2 shown]
	v_sub_f32_e32 v30, v30, v35
	v_sub_f32_e32 v35, v49, v82
	v_add_f32_e32 v44, v32, v33
	v_add_f32_e32 v45, v53, v55
	;; [unrolled: 1-line block ×4, first 2 shown]
	v_sub_f32_e32 v31, v31, v34
	v_sub_f32_e32 v34, v51, v59
	;; [unrolled: 1-line block ×10, first 2 shown]
	v_add_f32_e32 v44, v44, v48
	v_add_f32_e32 v45, v45, v49
	;; [unrolled: 1-line block ×4, first 2 shown]
	v_sub_f32_e32 v54, v32, v31
	v_sub_f32_e32 v55, v33, v34
	v_sub_f32_e32 v31, v31, v30
	v_mul_f32_e32 v36, 0x3f4a47b2, v36
	v_mul_f32_e32 v37, 0x3f4a47b2, v37
	;; [unrolled: 1-line block ×4, first 2 shown]
	v_add_f32_e32 v28, v28, v44
	v_add_f32_e32 v29, v29, v45
	v_sub_f32_e32 v32, v30, v32
	v_sub_f32_e32 v33, v35, v33
	;; [unrolled: 1-line block ×3, first 2 shown]
	v_add_f32_e32 v30, v52, v30
	v_add_f32_e32 v35, v53, v35
	v_mul_f32_e32 v52, 0xbf08b237, v54
	v_mul_f32_e32 v53, 0xbf08b237, v55
	;; [unrolled: 1-line block ×3, first 2 shown]
	v_fma_f32 v48, v50, s13, -v48
	v_fma_f32 v49, v51, s13, -v49
	;; [unrolled: 1-line block ×3, first 2 shown]
	v_fmac_f32_e32 v36, 0x3d64c772, v38
	v_fma_f32 v38, v51, s14, -v37
	v_mov_b32_e32 v51, v28
	v_mov_b32_e32 v58, v29
	v_mul_f32_e32 v55, 0x3f5ff5aa, v34
	v_fmac_f32_e32 v51, 0xbf955555, v44
	v_fmac_f32_e32 v58, 0xbf955555, v45
	;; [unrolled: 1-line block ×3, first 2 shown]
	v_fma_f32 v39, v31, s12, -v52
	v_fmac_f32_e32 v52, 0x3eae86e6, v32
	v_fma_f32 v44, v34, s12, -v53
	v_fmac_f32_e32 v53, 0x3eae86e6, v33
	v_fma_f32 v45, v32, s16, -v54
	v_fma_f32 v54, v33, s16, -v55
	v_add_f32_e32 v55, v36, v51
	v_add_f32_e32 v59, v37, v58
	;; [unrolled: 1-line block ×5, first 2 shown]
	v_fmac_f32_e32 v52, 0x3ee1c552, v30
	v_fmac_f32_e32 v53, 0x3ee1c552, v35
	;; [unrolled: 1-line block ×5, first 2 shown]
	v_add_f32_e32 v48, v50, v51
	v_fmac_f32_e32 v54, 0x3ee1c552, v35
	v_add_f32_e32 v30, v53, v55
	v_sub_f32_e32 v31, v59, v52
	v_sub_f32_e32 v33, v49, v45
	;; [unrolled: 1-line block ×3, first 2 shown]
	v_add_f32_e32 v35, v39, v37
	v_add_f32_e32 v36, v44, v36
	v_sub_f32_e32 v37, v37, v39
	v_add_f32_e32 v39, v45, v49
	v_sub_f32_e32 v44, v55, v53
	v_add_f32_e32 v45, v52, v59
	v_add_lshl_u32 v81, v46, v47, 3
	v_add_f32_e32 v32, v54, v48
	v_sub_f32_e32 v38, v48, v54
	ds_write2_b64 v81, v[28:29], v[30:31] offset1:25
	ds_write2_b64 v81, v[32:33], v[34:35] offset0:50 offset1:75
	ds_write2_b64 v81, v[36:37], v[38:39] offset0:100 offset1:125
	ds_write_b64 v81, v[44:45] offset:1200
	v_mad_u64_u32 v[44:45], s[4:5], v76, 48, s[4:5]
	s_waitcnt lgkmcnt(0)
	s_barrier
	global_load_dwordx4 v[36:39], v[44:45], off offset:1360
	global_load_dwordx4 v[32:35], v[44:45], off offset:1376
	;; [unrolled: 1-line block ×3, first 2 shown]
	v_mov_b32_e32 v48, s15
	ds_read2_b64 v[44:47], v75 offset1:175
	v_addc_co_u32_e64 v82, vcc, 0, v48, s[2:3]
	ds_read2_b64 v[48:51], v73 offset0:30 offset1:205
	ds_read2_b64 v[52:55], v74 offset0:60 offset1:235
	ds_read_b64 v[58:59], v75 offset:8400
	s_movk_i32 s3, 0x2000
	s_movk_i32 s2, 0x2648
	s_waitcnt vmcnt(2) lgkmcnt(3)
	v_mul_f32_e32 v83, v47, v37
	v_mul_f32_e32 v84, v46, v37
	s_waitcnt lgkmcnt(2)
	v_mul_f32_e32 v85, v49, v39
	s_waitcnt vmcnt(1)
	v_mul_f32_e32 v87, v51, v33
	v_mul_f32_e32 v88, v50, v33
	s_waitcnt vmcnt(0) lgkmcnt(1)
	v_mul_f32_e32 v91, v55, v29
	s_waitcnt lgkmcnt(0)
	v_mul_f32_e32 v93, v59, v31
	v_mul_f32_e32 v86, v48, v39
	;; [unrolled: 1-line block ×5, first 2 shown]
	v_fma_f32 v46, v46, v36, -v83
	v_fmac_f32_e32 v84, v47, v36
	v_fma_f32 v47, v48, v38, -v85
	v_fma_f32 v48, v50, v32, -v87
	v_fmac_f32_e32 v88, v51, v32
	v_fma_f32 v50, v54, v28, -v91
	v_fma_f32 v51, v58, v30, -v93
	v_mul_f32_e32 v90, v52, v35
	v_fmac_f32_e32 v86, v49, v38
	v_fma_f32 v49, v52, v34, -v89
	v_fmac_f32_e32 v92, v55, v28
	v_fmac_f32_e32 v94, v59, v30
	v_add_f32_e32 v52, v46, v51
	v_add_f32_e32 v54, v47, v50
	v_fmac_f32_e32 v90, v53, v34
	v_add_f32_e32 v53, v84, v94
	v_add_f32_e32 v55, v86, v92
	;; [unrolled: 1-line block ×4, first 2 shown]
	v_sub_f32_e32 v46, v46, v51
	v_sub_f32_e32 v51, v84, v94
	;; [unrolled: 1-line block ×3, first 2 shown]
	v_add_f32_e32 v59, v88, v90
	v_sub_f32_e32 v48, v49, v48
	v_add_f32_e32 v84, v55, v53
	v_sub_f32_e32 v85, v54, v52
	v_sub_f32_e32 v52, v52, v58
	;; [unrolled: 1-line block ×3, first 2 shown]
	v_add_f32_e32 v58, v58, v83
	v_sub_f32_e32 v50, v86, v92
	v_sub_f32_e32 v49, v90, v88
	v_sub_f32_e32 v86, v55, v53
	v_sub_f32_e32 v53, v53, v59
	v_sub_f32_e32 v55, v59, v55
	v_add_f32_e32 v87, v48, v47
	v_sub_f32_e32 v89, v48, v47
	v_sub_f32_e32 v91, v46, v48
	v_add_f32_e32 v59, v59, v84
	v_add_f32_e32 v48, v44, v58
	v_add_f32_e32 v88, v49, v50
	v_sub_f32_e32 v90, v49, v50
	v_sub_f32_e32 v92, v51, v49
	v_add_f32_e32 v49, v45, v59
	v_mul_f32_e32 v83, 0xbf08b237, v89
	v_mov_b32_e32 v89, v48
	v_sub_f32_e32 v47, v47, v46
	v_sub_f32_e32 v50, v50, v51
	v_mul_f32_e32 v44, 0x3f4a47b2, v52
	v_mul_f32_e32 v45, 0x3f4a47b2, v53
	;; [unrolled: 1-line block ×4, first 2 shown]
	v_fmac_f32_e32 v89, 0xbf955555, v58
	v_mov_b32_e32 v58, v49
	v_add_f32_e32 v46, v87, v46
	v_add_f32_e32 v51, v88, v51
	v_mul_f32_e32 v53, 0x3d64c772, v55
	v_mul_f32_e32 v87, 0x3f5ff5aa, v47
	;; [unrolled: 1-line block ×3, first 2 shown]
	v_fmac_f32_e32 v58, 0xbf955555, v59
	v_fma_f32 v52, v85, s13, -v52
	v_fma_f32 v59, v85, s14, -v44
	v_fmac_f32_e32 v44, 0x3d64c772, v54
	v_fma_f32 v54, v86, s14, -v45
	v_fmac_f32_e32 v45, 0x3d64c772, v55
	;; [unrolled: 2-line block ×4, first 2 shown]
	v_fma_f32 v53, v86, s13, -v53
	v_fma_f32 v86, v91, s16, -v87
	;; [unrolled: 1-line block ×3, first 2 shown]
	v_add_f32_e32 v88, v44, v89
	v_add_f32_e32 v90, v45, v58
	v_fmac_f32_e32 v83, 0x3ee1c552, v46
	v_fmac_f32_e32 v84, 0x3ee1c552, v51
	v_add_f32_e32 v44, v52, v89
	v_add_f32_e32 v45, v53, v58
	;; [unrolled: 1-line block ×4, first 2 shown]
	v_fmac_f32_e32 v47, 0x3ee1c552, v46
	v_fmac_f32_e32 v85, 0x3ee1c552, v51
	;; [unrolled: 1-line block ×4, first 2 shown]
	v_add_f32_e32 v50, v84, v88
	v_sub_f32_e32 v51, v90, v83
	v_add_f32_e32 v52, v87, v89
	v_sub_f32_e32 v53, v91, v86
	v_sub_f32_e32 v54, v44, v85
	v_add_f32_e32 v55, v47, v45
	v_add_f32_e32 v58, v85, v44
	v_sub_f32_e32 v59, v45, v47
	v_sub_f32_e32 v44, v89, v87
	v_add_f32_e32 v45, v86, v91
	v_sub_f32_e32 v46, v88, v84
	v_add_f32_e32 v47, v83, v90
	ds_write2_b64 v75, v[48:49], v[50:51] offset1:175
	ds_write2_b64 v73, v[52:53], v[54:55] offset0:30 offset1:205
	ds_write2_b64 v74, v[58:59], v[44:45] offset0:60 offset1:235
	ds_write_b64 v75, v[46:47] offset:8400
	v_add_co_u32_e32 v48, vcc, s3, v60
	v_addc_co_u32_e32 v49, vcc, 0, v82, vcc
	s_waitcnt lgkmcnt(0)
	s_barrier
	global_load_dwordx2 v[54:55], v[48:49], off offset:1608
	v_add_co_u32_e32 v48, vcc, s2, v60
	v_addc_co_u32_e32 v49, vcc, 0, v82, vcc
	global_load_dwordx2 v[58:59], v[48:49], off offset:1960
	global_load_dwordx2 v[73:74], v[48:49], off offset:3920
	s_movk_i32 s2, 0x3000
	v_add_co_u32_e32 v50, vcc, s2, v60
	v_addc_co_u32_e32 v51, vcc, 0, v82, vcc
	global_load_dwordx2 v[86:87], v[50:51], off offset:3392
	v_add_co_u32_e32 v50, vcc, 0x4000, v60
	v_addc_co_u32_e32 v51, vcc, 0, v82, vcc
	global_load_dwordx2 v[88:89], v[50:51], off offset:1256
	ds_read2_b64 v[50:53], v75 offset1:245
	s_waitcnt vmcnt(4) lgkmcnt(0)
	v_mul_f32_e32 v82, v51, v55
	v_mul_f32_e32 v83, v50, v55
	v_fma_f32 v82, v50, v54, -v82
	v_fmac_f32_e32 v83, v51, v54
	s_waitcnt vmcnt(3)
	v_mul_f32_e32 v50, v53, v59
	v_mul_f32_e32 v51, v52, v59
	v_fma_f32 v50, v52, v58, -v50
	v_fmac_f32_e32 v51, v53, v58
	ds_write2_b64 v75, v[82:83], v[50:51] offset1:245
	v_add_u32_e32 v52, 0xf00, v75
	ds_read2_b64 v[82:85], v52 offset0:10 offset1:255
	ds_read_b64 v[53:54], v75 offset:7840
	s_waitcnt vmcnt(2) lgkmcnt(1)
	v_mul_f32_e32 v50, v83, v74
	v_mul_f32_e32 v51, v82, v74
	s_waitcnt vmcnt(1)
	v_mul_f32_e32 v55, v85, v87
	v_mul_f32_e32 v59, v84, v87
	v_fma_f32 v50, v82, v73, -v50
	v_fmac_f32_e32 v51, v83, v73
	v_fma_f32 v58, v84, v86, -v55
	v_fmac_f32_e32 v59, v85, v86
	ds_write2_b64 v52, v[50:51], v[58:59] offset0:10 offset1:255
	s_waitcnt vmcnt(0) lgkmcnt(1)
	v_mul_f32_e32 v50, v54, v89
	v_mul_f32_e32 v51, v53, v89
	v_fma_f32 v50, v53, v88, -v50
	v_fmac_f32_e32 v51, v54, v88
	ds_write_b64 v75, v[50:51] offset:7840
	s_and_saveexec_b64 s[2:3], s[0:1]
	s_cbranch_execz .LBB0_13
; %bb.12:
	s_movk_i32 s4, 0x1000
	v_add_co_u32_e32 v50, vcc, s4, v48
	v_addc_co_u32_e32 v51, vcc, 0, v49, vcc
	global_load_dwordx2 v[53:54], v[48:49], off offset:1400
	global_load_dwordx2 v[58:59], v[48:49], off offset:3360
	v_add_co_u32_e32 v48, vcc, 0x2000, v48
	global_load_dwordx2 v[73:74], v[50:51], off offset:1224
	global_load_dwordx2 v[86:87], v[50:51], off offset:3184
	v_addc_co_u32_e32 v49, vcc, 0, v49, vcc
	global_load_dwordx2 v[88:89], v[48:49], off offset:1048
	v_add_u32_e32 v94, 0x540, v75
	ds_read2_b64 v[48:51], v94 offset0:7 offset1:252
	v_add_u32_e32 v95, 0x1480, v75
	ds_read_b64 v[90:91], v75 offset:9240
	ds_read2_b64 v[82:85], v95 offset0:9 offset1:254
	s_waitcnt vmcnt(4) lgkmcnt(2)
	v_mul_f32_e32 v92, v49, v54
	v_mul_f32_e32 v55, v48, v54
	s_waitcnt vmcnt(3)
	v_mul_f32_e32 v96, v51, v59
	v_mul_f32_e32 v93, v50, v59
	v_fma_f32 v54, v48, v53, -v92
	v_fmac_f32_e32 v55, v49, v53
	v_fma_f32 v92, v50, v58, -v96
	v_fmac_f32_e32 v93, v51, v58
	s_waitcnt vmcnt(2) lgkmcnt(0)
	v_mul_f32_e32 v48, v83, v74
	v_mul_f32_e32 v49, v82, v74
	s_waitcnt vmcnt(1)
	v_mul_f32_e32 v50, v85, v87
	v_mul_f32_e32 v51, v84, v87
	ds_write2_b64 v94, v[54:55], v[92:93] offset0:7 offset1:252
	s_waitcnt vmcnt(0)
	v_mul_f32_e32 v53, v91, v89
	v_mul_f32_e32 v54, v90, v89
	v_fma_f32 v48, v82, v73, -v48
	v_fmac_f32_e32 v49, v83, v73
	v_fma_f32 v50, v84, v86, -v50
	v_fmac_f32_e32 v51, v85, v86
	;; [unrolled: 2-line block ×3, first 2 shown]
	ds_write2_b64 v95, v[48:49], v[50:51] offset0:9 offset1:254
	ds_write_b64 v75, v[53:54] offset:9240
.LBB0_13:
	s_or_b64 exec, exec, s[2:3]
	s_waitcnt lgkmcnt(0)
	s_barrier
	ds_read2_b64 v[48:51], v75 offset1:245
	ds_read2_b64 v[52:55], v52 offset0:10 offset1:255
	ds_read_b64 v[58:59], v75 offset:7840
	s_and_saveexec_b64 s[2:3], s[0:1]
	s_cbranch_execz .LBB0_15
; %bb.14:
	v_add_u32_e32 v40, 0x540, v75
	ds_read2_b64 v[44:47], v40 offset0:7 offset1:252
	v_add_u32_e32 v40, 0x1480, v75
	ds_read2_b64 v[40:43], v40 offset0:9 offset1:254
	ds_read_b64 v[56:57], v75 offset:9240
.LBB0_15:
	s_or_b64 exec, exec, s[2:3]
	s_waitcnt lgkmcnt(2)
	v_add_f32_e32 v73, v48, v50
	s_waitcnt lgkmcnt(1)
	v_add_f32_e32 v73, v73, v52
	v_add_f32_e32 v73, v73, v54
	s_waitcnt lgkmcnt(0)
	v_add_f32_e32 v82, v73, v58
	v_add_f32_e32 v73, v52, v54
	v_fma_f32 v84, -0.5, v73, v48
	v_sub_f32_e32 v73, v51, v59
	v_mov_b32_e32 v86, v84
	v_fmac_f32_e32 v86, 0xbf737871, v73
	v_sub_f32_e32 v74, v53, v55
	v_sub_f32_e32 v83, v50, v52
	;; [unrolled: 1-line block ×3, first 2 shown]
	v_fmac_f32_e32 v84, 0x3f737871, v73
	v_fmac_f32_e32 v86, 0xbf167918, v74
	v_add_f32_e32 v83, v83, v85
	v_fmac_f32_e32 v84, 0x3f167918, v74
	v_fmac_f32_e32 v86, 0x3e9e377a, v83
	;; [unrolled: 1-line block ×3, first 2 shown]
	v_add_f32_e32 v83, v50, v58
	v_fma_f32 v88, -0.5, v83, v48
	v_mov_b32_e32 v90, v88
	v_fmac_f32_e32 v90, 0x3f737871, v74
	v_sub_f32_e32 v48, v52, v50
	v_sub_f32_e32 v83, v54, v58
	v_fmac_f32_e32 v88, 0xbf737871, v74
	v_fmac_f32_e32 v90, 0xbf167918, v73
	v_add_f32_e32 v48, v48, v83
	v_fmac_f32_e32 v88, 0x3f167918, v73
	v_fmac_f32_e32 v90, 0x3e9e377a, v48
	;; [unrolled: 1-line block ×3, first 2 shown]
	v_add_f32_e32 v48, v49, v51
	v_add_f32_e32 v48, v48, v53
	;; [unrolled: 1-line block ×5, first 2 shown]
	v_fma_f32 v85, -0.5, v48, v49
	v_sub_f32_e32 v48, v50, v58
	v_mov_b32_e32 v87, v85
	v_fmac_f32_e32 v87, 0x3f737871, v48
	v_sub_f32_e32 v50, v52, v54
	v_sub_f32_e32 v52, v51, v53
	;; [unrolled: 1-line block ×3, first 2 shown]
	v_fmac_f32_e32 v85, 0xbf737871, v48
	v_fmac_f32_e32 v87, 0x3f167918, v50
	v_add_f32_e32 v52, v52, v54
	v_fmac_f32_e32 v85, 0xbf167918, v50
	v_fmac_f32_e32 v87, 0x3e9e377a, v52
	;; [unrolled: 1-line block ×3, first 2 shown]
	v_add_f32_e32 v52, v51, v59
	v_fma_f32 v89, -0.5, v52, v49
	v_mov_b32_e32 v91, v89
	v_fmac_f32_e32 v91, 0xbf737871, v50
	v_sub_f32_e32 v49, v53, v51
	v_sub_f32_e32 v51, v55, v59
	v_fmac_f32_e32 v89, 0x3f737871, v50
	v_fmac_f32_e32 v91, 0x3f167918, v48
	v_add_f32_e32 v49, v49, v51
	v_fmac_f32_e32 v89, 0xbf167918, v48
	v_fmac_f32_e32 v91, 0x3e9e377a, v49
	;; [unrolled: 1-line block ×3, first 2 shown]
	v_add_f32_e32 v49, v40, v42
	v_fma_f32 v73, -0.5, v49, v44
	v_sub_f32_e32 v49, v47, v57
	v_mov_b32_e32 v50, v73
	v_fmac_f32_e32 v50, 0xbf737871, v49
	v_sub_f32_e32 v51, v41, v43
	v_sub_f32_e32 v52, v46, v40
	;; [unrolled: 1-line block ×3, first 2 shown]
	v_fmac_f32_e32 v73, 0x3f737871, v49
	v_fmac_f32_e32 v50, 0xbf167918, v51
	v_add_f32_e32 v52, v52, v53
	v_fmac_f32_e32 v73, 0x3f167918, v51
	v_fmac_f32_e32 v50, 0x3e9e377a, v52
	;; [unrolled: 1-line block ×3, first 2 shown]
	v_add_f32_e32 v52, v46, v56
	v_add_f32_e32 v48, v44, v46
	v_fmac_f32_e32 v44, -0.5, v52
	v_mov_b32_e32 v52, v44
	v_fmac_f32_e32 v52, 0x3f737871, v51
	v_fmac_f32_e32 v44, 0xbf737871, v51
	v_add_f32_e32 v51, v41, v43
	v_sub_f32_e32 v53, v40, v46
	v_sub_f32_e32 v54, v42, v56
	v_fma_f32 v74, -0.5, v51, v45
	v_add_f32_e32 v48, v48, v40
	v_fmac_f32_e32 v52, 0xbf167918, v49
	v_add_f32_e32 v53, v53, v54
	v_fmac_f32_e32 v44, 0x3f167918, v49
	v_sub_f32_e32 v46, v46, v56
	v_mov_b32_e32 v51, v74
	v_add_f32_e32 v48, v48, v42
	v_fmac_f32_e32 v52, 0x3e9e377a, v53
	v_fmac_f32_e32 v44, 0x3e9e377a, v53
	;; [unrolled: 1-line block ×3, first 2 shown]
	v_sub_f32_e32 v40, v40, v42
	v_sub_f32_e32 v42, v47, v41
	;; [unrolled: 1-line block ×3, first 2 shown]
	v_fmac_f32_e32 v74, 0xbf737871, v46
	v_fmac_f32_e32 v51, 0x3f167918, v40
	v_add_f32_e32 v42, v42, v53
	v_fmac_f32_e32 v74, 0xbf167918, v40
	v_fmac_f32_e32 v51, 0x3e9e377a, v42
	;; [unrolled: 1-line block ×3, first 2 shown]
	v_add_f32_e32 v42, v47, v57
	v_add_f32_e32 v49, v45, v47
	v_fmac_f32_e32 v45, -0.5, v42
	v_mov_b32_e32 v53, v45
	v_add_f32_e32 v49, v49, v41
	v_fmac_f32_e32 v53, 0xbf737871, v40
	v_sub_f32_e32 v41, v41, v47
	v_sub_f32_e32 v42, v43, v57
	v_fmac_f32_e32 v45, 0x3f737871, v40
	v_add_f32_e32 v49, v49, v43
	v_fmac_f32_e32 v53, 0x3f167918, v46
	v_add_f32_e32 v41, v41, v42
	;; [unrolled: 2-line block ×3, first 2 shown]
	v_add_f32_e32 v49, v49, v57
	v_fmac_f32_e32 v53, 0x3e9e377a, v41
	v_fmac_f32_e32 v45, 0x3e9e377a, v41
	s_barrier
	ds_write2_b64 v77, v[82:83], v[86:87] offset1:1
	ds_write2_b64 v77, v[90:91], v[88:89] offset0:2 offset1:3
	ds_write_b64 v77, v[84:85] offset:32
	s_and_saveexec_b64 s[2:3], s[0:1]
	s_cbranch_execz .LBB0_17
; %bb.16:
	v_lshlrev_b32_e32 v42, 3, v78
	v_mov_b32_e32 v40, v44
	v_mov_b32_e32 v41, v45
	ds_write2_b64 v42, v[48:49], v[50:51] offset1:1
	ds_write2_b64 v42, v[52:53], v[40:41] offset0:2 offset1:3
	ds_write_b64 v42, v[73:74] offset:32
.LBB0_17:
	s_or_b64 exec, exec, s[2:3]
	v_add_u32_e32 v46, 0xf00, v75
	s_waitcnt lgkmcnt(0)
	s_barrier
	ds_read2_b64 v[40:43], v75 offset1:245
	ds_read2_b64 v[56:59], v46 offset0:10 offset1:255
	ds_read_b64 v[46:47], v75 offset:7840
	s_and_saveexec_b64 s[2:3], s[0:1]
	s_cbranch_execz .LBB0_19
; %bb.18:
	v_add_u32_e32 v45, 0x1480, v75
	v_add_u32_e32 v44, 0x540, v75
	ds_read2_b64 v[52:55], v45 offset0:9 offset1:254
	ds_read_b64 v[73:74], v75 offset:9240
	ds_read2_b64 v[48:51], v44 offset0:7 offset1:252
	s_waitcnt lgkmcnt(2)
	v_mov_b32_e32 v44, v54
	v_mov_b32_e32 v45, v55
.LBB0_19:
	s_or_b64 exec, exec, s[2:3]
	s_waitcnt lgkmcnt(2)
	v_mul_f32_e32 v54, v13, v43
	v_mul_f32_e32 v13, v13, v42
	v_fmac_f32_e32 v54, v12, v42
	v_fma_f32 v42, v12, v43, -v13
	s_waitcnt lgkmcnt(1)
	v_mul_f32_e32 v43, v15, v57
	v_mul_f32_e32 v12, v15, v56
	;; [unrolled: 1-line block ×3, first 2 shown]
	v_fmac_f32_e32 v43, v14, v56
	v_fmac_f32_e32 v15, v8, v58
	v_mul_f32_e32 v9, v9, v58
	v_fma_f32 v56, v8, v59, -v9
	s_waitcnt lgkmcnt(0)
	v_mul_f32_e32 v13, v11, v47
	v_mul_f32_e32 v8, v11, v46
	v_add_f32_e32 v9, v43, v15
	v_fmac_f32_e32 v13, v10, v46
	v_fma_f32 v46, v10, v47, -v8
	v_fma_f32 v10, -0.5, v9, v40
	v_fma_f32 v55, v14, v57, -v12
	v_sub_f32_e32 v9, v42, v46
	v_mov_b32_e32 v12, v10
	v_fmac_f32_e32 v12, 0xbf737871, v9
	v_sub_f32_e32 v11, v55, v56
	v_sub_f32_e32 v14, v54, v43
	;; [unrolled: 1-line block ×3, first 2 shown]
	v_fmac_f32_e32 v10, 0x3f737871, v9
	v_fmac_f32_e32 v12, 0xbf167918, v11
	v_add_f32_e32 v14, v14, v47
	v_fmac_f32_e32 v10, 0x3f167918, v11
	v_fmac_f32_e32 v12, 0x3e9e377a, v14
	;; [unrolled: 1-line block ×3, first 2 shown]
	v_add_f32_e32 v14, v54, v13
	v_fma_f32 v14, -0.5, v14, v40
	v_add_f32_e32 v8, v40, v54
	v_mov_b32_e32 v40, v14
	v_add_f32_e32 v8, v8, v43
	v_fmac_f32_e32 v40, 0x3f737871, v11
	v_sub_f32_e32 v47, v43, v54
	v_sub_f32_e32 v57, v15, v13
	v_fmac_f32_e32 v14, 0xbf737871, v11
	v_add_f32_e32 v11, v55, v56
	v_add_f32_e32 v8, v8, v15
	v_fmac_f32_e32 v40, 0xbf167918, v9
	v_add_f32_e32 v47, v47, v57
	v_fmac_f32_e32 v14, 0x3f167918, v9
	v_fma_f32 v11, -0.5, v11, v41
	v_add_f32_e32 v8, v8, v13
	v_fmac_f32_e32 v40, 0x3e9e377a, v47
	v_fmac_f32_e32 v14, 0x3e9e377a, v47
	v_sub_f32_e32 v47, v54, v13
	v_mov_b32_e32 v13, v11
	v_fmac_f32_e32 v13, 0x3f737871, v47
	v_sub_f32_e32 v43, v43, v15
	v_sub_f32_e32 v15, v42, v55
	;; [unrolled: 1-line block ×3, first 2 shown]
	v_fmac_f32_e32 v11, 0xbf737871, v47
	v_fmac_f32_e32 v13, 0x3f167918, v43
	v_add_f32_e32 v15, v15, v54
	v_fmac_f32_e32 v11, 0xbf167918, v43
	v_add_f32_e32 v9, v41, v42
	v_fmac_f32_e32 v13, 0x3e9e377a, v15
	v_fmac_f32_e32 v11, 0x3e9e377a, v15
	v_add_f32_e32 v15, v42, v46
	v_add_f32_e32 v9, v9, v55
	v_fma_f32 v15, -0.5, v15, v41
	v_add_f32_e32 v9, v9, v56
	v_mov_b32_e32 v41, v15
	v_add_f32_e32 v9, v9, v46
	v_fmac_f32_e32 v41, 0xbf737871, v43
	v_sub_f32_e32 v42, v55, v42
	v_sub_f32_e32 v46, v56, v46
	v_fmac_f32_e32 v15, 0x3f737871, v43
	v_fmac_f32_e32 v41, 0x3f167918, v47
	v_add_f32_e32 v42, v42, v46
	v_fmac_f32_e32 v15, 0xbf167918, v47
	v_fmac_f32_e32 v41, 0x3e9e377a, v42
	;; [unrolled: 1-line block ×3, first 2 shown]
	s_barrier
	ds_write2_b64 v80, v[8:9], v[12:13] offset1:5
	ds_write2_b64 v80, v[40:41], v[14:15] offset0:10 offset1:15
	ds_write_b64 v80, v[10:11] offset:160
	s_and_saveexec_b64 s[2:3], s[0:1]
	s_cbranch_execz .LBB0_21
; %bb.20:
	v_mul_f32_e32 v8, v3, v52
	v_mul_f32_e32 v10, v5, v44
	v_fma_f32 v9, v2, v53, -v8
	v_mul_f32_e32 v8, v1, v50
	v_fma_f32 v12, v4, v45, -v10
	;; [unrolled: 2-line block ×3, first 2 shown]
	v_fma_f32 v13, v6, v74, -v10
	v_mul_f32_e32 v14, v3, v53
	v_fmac_f32_e32 v14, v2, v52
	v_mul_f32_e32 v15, v5, v45
	v_add_f32_e32 v2, v11, v13
	v_mul_f32_e32 v40, v1, v51
	v_fmac_f32_e32 v15, v4, v44
	v_fma_f32 v2, -0.5, v2, v49
	v_fmac_f32_e32 v40, v0, v50
	v_mul_f32_e32 v0, v7, v74
	v_sub_f32_e32 v3, v14, v15
	v_mov_b32_e32 v4, v2
	v_fmac_f32_e32 v0, v6, v73
	v_sub_f32_e32 v5, v11, v9
	v_sub_f32_e32 v6, v13, v12
	;; [unrolled: 1-line block ×4, first 2 shown]
	v_fmac_f32_e32 v4, 0x3f737871, v3
	v_sub_f32_e32 v1, v40, v0
	v_fmac_f32_e32 v2, 0xbf737871, v3
	v_add_f32_e32 v5, v5, v6
	v_add_f32_e32 v6, v9, v12
	;; [unrolled: 1-line block ×3, first 2 shown]
	v_fmac_f32_e32 v4, 0xbf167918, v1
	v_fmac_f32_e32 v2, 0x3f167918, v1
	v_fma_f32 v6, -0.5, v6, v49
	v_fmac_f32_e32 v4, 0x3e9e377a, v8
	v_fmac_f32_e32 v2, 0x3e9e377a, v8
	v_mov_b32_e32 v8, v6
	v_fmac_f32_e32 v8, 0xbf737871, v1
	v_fmac_f32_e32 v6, 0x3f737871, v1
	v_add_f32_e32 v1, v49, v11
	v_add_f32_e32 v1, v1, v9
	;; [unrolled: 1-line block ×3, first 2 shown]
	v_fmac_f32_e32 v8, 0xbf167918, v3
	v_fmac_f32_e32 v6, 0x3f167918, v3
	v_add_f32_e32 v10, v1, v13
	v_sub_f32_e32 v1, v14, v40
	v_sub_f32_e32 v3, v15, v0
	v_fmac_f32_e32 v8, 0x3e9e377a, v5
	v_fmac_f32_e32 v6, 0x3e9e377a, v5
	v_add_f32_e32 v5, v1, v3
	v_add_f32_e32 v1, v40, v0
	v_fma_f32 v1, -0.5, v1, v48
	v_sub_f32_e32 v9, v9, v12
	v_mov_b32_e32 v3, v1
	v_sub_f32_e32 v11, v11, v13
	v_fmac_f32_e32 v3, 0xbf737871, v9
	v_fmac_f32_e32 v1, 0x3f737871, v9
	;; [unrolled: 1-line block ×6, first 2 shown]
	v_sub_f32_e32 v5, v40, v14
	v_sub_f32_e32 v7, v0, v15
	v_add_f32_e32 v12, v5, v7
	v_add_f32_e32 v5, v14, v15
	v_fma_f32 v5, -0.5, v5, v48
	v_mov_b32_e32 v7, v5
	v_fmac_f32_e32 v7, 0x3f737871, v11
	v_fmac_f32_e32 v5, 0xbf737871, v11
	;; [unrolled: 1-line block ×4, first 2 shown]
	v_add_f32_e32 v9, v48, v40
	v_add_f32_e32 v9, v9, v14
	;; [unrolled: 1-line block ×3, first 2 shown]
	v_fmac_f32_e32 v5, 0x3e9e377a, v12
	v_add_f32_e32 v9, v9, v0
	v_lshlrev_b32_e32 v0, 3, v79
	v_fmac_f32_e32 v7, 0x3e9e377a, v12
	ds_write2_b64 v0, v[9:10], v[5:6] offset1:5
	ds_write2_b64 v0, v[1:2], v[3:4] offset0:10 offset1:15
	ds_write_b64 v0, v[7:8] offset:160
.LBB0_21:
	s_or_b64 exec, exec, s[2:3]
	s_waitcnt lgkmcnt(0)
	s_barrier
	ds_read2_b64 v[0:3], v75 offset1:175
	v_add_u32_e32 v40, 0xa00, v75
	ds_read2_b64 v[4:7], v40 offset0:30 offset1:205
	v_add_u32_e32 v41, 0x1400, v75
	ds_read2_b64 v[8:11], v41 offset0:60 offset1:235
	ds_read_b64 v[12:13], v75 offset:8400
	s_waitcnt lgkmcnt(3)
	v_mul_f32_e32 v14, v25, v3
	v_fmac_f32_e32 v14, v24, v2
	v_mul_f32_e32 v2, v25, v2
	v_fma_f32 v2, v24, v3, -v2
	s_waitcnt lgkmcnt(2)
	v_mul_f32_e32 v3, v27, v5
	v_fmac_f32_e32 v3, v26, v4
	v_mul_f32_e32 v4, v27, v4
	v_fma_f32 v4, v26, v5, -v4
	v_mul_f32_e32 v5, v21, v7
	v_fmac_f32_e32 v5, v20, v6
	v_mul_f32_e32 v6, v21, v6
	v_fma_f32 v6, v20, v7, -v6
	s_waitcnt lgkmcnt(1)
	v_mul_f32_e32 v7, v23, v9
	v_fmac_f32_e32 v7, v22, v8
	v_mul_f32_e32 v8, v23, v8
	v_fma_f32 v8, v22, v9, -v8
	;; [unrolled: 9-line block ×3, first 2 shown]
	v_add_f32_e32 v13, v14, v11
	v_add_f32_e32 v15, v2, v12
	v_sub_f32_e32 v2, v2, v12
	v_add_f32_e32 v12, v3, v9
	v_sub_f32_e32 v11, v14, v11
	;; [unrolled: 2-line block ×6, first 2 shown]
	v_add_f32_e32 v8, v14, v15
	v_add_f32_e32 v7, v9, v7
	;; [unrolled: 1-line block ×4, first 2 shown]
	v_sub_f32_e32 v16, v12, v13
	v_sub_f32_e32 v17, v14, v15
	;; [unrolled: 1-line block ×6, first 2 shown]
	v_add_f32_e32 v18, v5, v3
	v_add_f32_e32 v19, v6, v4
	v_sub_f32_e32 v20, v5, v3
	v_sub_f32_e32 v21, v6, v4
	v_add_f32_e32 v1, v1, v8
	v_mov_b32_e32 v22, v0
	v_sub_f32_e32 v5, v11, v5
	v_sub_f32_e32 v6, v2, v6
	;; [unrolled: 1-line block ×4, first 2 shown]
	v_add_f32_e32 v9, v18, v11
	v_add_f32_e32 v2, v19, v2
	v_mul_f32_e32 v10, 0x3f4a47b2, v13
	v_mul_f32_e32 v11, 0x3f4a47b2, v15
	;; [unrolled: 1-line block ×6, first 2 shown]
	s_mov_b32 s4, 0xbf5ff5aa
	v_fmac_f32_e32 v22, 0xbf955555, v7
	v_mov_b32_e32 v7, v1
	s_mov_b32 s5, 0x3f3bfb3b
	s_mov_b32 s12, 0xbf3bfb3b
	v_mul_f32_e32 v20, 0xbf5ff5aa, v3
	v_mul_f32_e32 v21, 0xbf5ff5aa, v4
	v_fmac_f32_e32 v7, 0xbf955555, v8
	v_fma_f32 v8, v16, s5, -v13
	v_fma_f32 v13, v17, s5, -v15
	v_fma_f32 v15, v16, s12, -v10
	v_fmac_f32_e32 v10, 0x3d64c772, v12
	v_fma_f32 v12, v17, s12, -v11
	v_fmac_f32_e32 v11, 0x3d64c772, v14
	v_fma_f32 v14, v3, s4, -v18
	v_fmac_f32_e32 v18, 0xbeae86e6, v5
	v_fma_f32 v16, v4, s4, -v19
	v_fmac_f32_e32 v19, 0xbeae86e6, v6
	s_mov_b32 s13, 0x3eae86e6
	v_fma_f32 v17, v5, s13, -v20
	v_fma_f32 v20, v6, s13, -v21
	v_add_f32_e32 v21, v10, v22
	v_add_f32_e32 v23, v11, v7
	v_fmac_f32_e32 v18, 0xbee1c552, v9
	v_fmac_f32_e32 v19, 0xbee1c552, v2
	v_add_f32_e32 v8, v8, v22
	v_add_f32_e32 v10, v13, v7
	;; [unrolled: 1-line block ×4, first 2 shown]
	v_fmac_f32_e32 v14, 0xbee1c552, v9
	v_fmac_f32_e32 v16, 0xbee1c552, v2
	;; [unrolled: 1-line block ×4, first 2 shown]
	v_add_f32_e32 v2, v19, v21
	v_sub_f32_e32 v3, v23, v18
	v_add_f32_e32 v4, v20, v11
	v_sub_f32_e32 v5, v12, v17
	v_sub_f32_e32 v6, v8, v16
	v_add_f32_e32 v7, v14, v10
	v_add_f32_e32 v8, v16, v8
	v_sub_f32_e32 v9, v10, v14
	v_sub_f32_e32 v10, v11, v20
	v_add_f32_e32 v11, v17, v12
	v_sub_f32_e32 v12, v21, v19
	v_add_f32_e32 v13, v18, v23
	s_barrier
	ds_write2_b64 v81, v[0:1], v[2:3] offset1:25
	ds_write2_b64 v81, v[4:5], v[6:7] offset0:50 offset1:75
	ds_write2_b64 v81, v[8:9], v[10:11] offset0:100 offset1:125
	ds_write_b64 v81, v[12:13] offset:1200
	s_waitcnt lgkmcnt(0)
	s_barrier
	ds_read2_b64 v[0:3], v75 offset1:175
	ds_read2_b64 v[4:7], v40 offset0:30 offset1:205
	ds_read2_b64 v[8:11], v41 offset0:60 offset1:235
	ds_read_b64 v[14:15], v75 offset:8400
	v_mad_u64_u32 v[12:13], s[2:3], s10, v62, 0
	s_mov_b32 s2, 0xe03c2fa6
	s_waitcnt lgkmcnt(3)
	v_mul_f32_e32 v16, v37, v3
	v_fmac_f32_e32 v16, v36, v2
	v_mul_f32_e32 v2, v37, v2
	v_fma_f32 v2, v36, v3, -v2
	s_waitcnt lgkmcnt(2)
	v_mul_f32_e32 v3, v39, v5
	v_fmac_f32_e32 v3, v38, v4
	v_mul_f32_e32 v4, v39, v4
	v_fma_f32 v4, v38, v5, -v4
	v_mul_f32_e32 v5, v33, v7
	v_fmac_f32_e32 v5, v32, v6
	v_mul_f32_e32 v6, v33, v6
	v_fma_f32 v6, v32, v7, -v6
	s_waitcnt lgkmcnt(1)
	v_mul_f32_e32 v7, v35, v9
	v_fmac_f32_e32 v7, v34, v8
	v_mul_f32_e32 v8, v35, v8
	v_fma_f32 v8, v34, v9, -v8
	;; [unrolled: 9-line block ×3, first 2 shown]
	v_add_f32_e32 v15, v16, v11
	v_add_f32_e32 v17, v2, v14
	v_sub_f32_e32 v2, v2, v14
	v_add_f32_e32 v14, v3, v9
	v_sub_f32_e32 v11, v16, v11
	;; [unrolled: 2-line block ×6, first 2 shown]
	v_add_f32_e32 v8, v16, v17
	v_add_f32_e32 v7, v9, v7
	;; [unrolled: 1-line block ×4, first 2 shown]
	v_sub_f32_e32 v18, v14, v15
	v_sub_f32_e32 v19, v16, v17
	;; [unrolled: 1-line block ×6, first 2 shown]
	v_add_f32_e32 v20, v5, v3
	v_add_f32_e32 v21, v6, v4
	v_sub_f32_e32 v22, v5, v3
	v_sub_f32_e32 v23, v6, v4
	v_add_f32_e32 v1, v1, v8
	v_mov_b32_e32 v24, v0
	v_sub_f32_e32 v5, v11, v5
	v_sub_f32_e32 v6, v2, v6
	;; [unrolled: 1-line block ×4, first 2 shown]
	v_add_f32_e32 v9, v20, v11
	v_add_f32_e32 v2, v21, v2
	v_mul_f32_e32 v10, 0x3f4a47b2, v15
	v_mul_f32_e32 v11, 0x3f4a47b2, v17
	;; [unrolled: 1-line block ×6, first 2 shown]
	v_fmac_f32_e32 v24, 0xbf955555, v7
	v_mov_b32_e32 v7, v1
	v_mul_f32_e32 v22, 0xbf5ff5aa, v3
	v_mul_f32_e32 v23, 0xbf5ff5aa, v4
	v_fmac_f32_e32 v7, 0xbf955555, v8
	v_fma_f32 v8, v18, s5, -v15
	v_fma_f32 v15, v19, s5, -v17
	;; [unrolled: 1-line block ×3, first 2 shown]
	v_fmac_f32_e32 v10, 0x3d64c772, v14
	v_fma_f32 v14, v19, s12, -v11
	v_fmac_f32_e32 v11, 0x3d64c772, v16
	v_fma_f32 v16, v3, s4, -v20
	;; [unrolled: 2-line block ×4, first 2 shown]
	v_fma_f32 v22, v6, s13, -v23
	v_add_f32_e32 v23, v10, v24
	v_add_f32_e32 v25, v11, v7
	v_fmac_f32_e32 v20, 0xbee1c552, v9
	v_fmac_f32_e32 v21, 0xbee1c552, v2
	v_add_f32_e32 v8, v8, v24
	v_add_f32_e32 v10, v15, v7
	;; [unrolled: 1-line block ×4, first 2 shown]
	v_fmac_f32_e32 v16, 0xbee1c552, v9
	v_fmac_f32_e32 v18, 0xbee1c552, v2
	;; [unrolled: 1-line block ×4, first 2 shown]
	v_add_f32_e32 v2, v21, v23
	v_sub_f32_e32 v3, v25, v20
	v_add_f32_e32 v4, v22, v11
	v_sub_f32_e32 v5, v14, v19
	v_sub_f32_e32 v6, v8, v18
	v_add_f32_e32 v7, v16, v10
	v_add_f32_e32 v8, v18, v8
	v_sub_f32_e32 v9, v10, v16
	v_sub_f32_e32 v10, v11, v22
	v_add_f32_e32 v11, v19, v14
	v_sub_f32_e32 v14, v23, v21
	v_add_f32_e32 v15, v20, v25
	ds_write2_b64 v75, v[0:1], v[2:3] offset1:175
	ds_write2_b64 v40, v[4:5], v[6:7] offset0:30 offset1:205
	ds_write2_b64 v41, v[8:9], v[10:11] offset0:60 offset1:235
	ds_write_b64 v75, v[14:15] offset:8400
	s_waitcnt lgkmcnt(0)
	s_barrier
	ds_read2_b64 v[0:3], v75 offset1:245
	s_mov_b32 s3, 0x3f4abfd7
	v_mad_u64_u32 v[7:8], s[4:5], s8, v76, 0
	v_mov_b32_e32 v4, v13
	s_waitcnt lgkmcnt(0)
	v_mul_f32_e32 v5, v72, v1
	v_fmac_f32_e32 v5, v71, v0
	v_cvt_f64_f32_e32 v[5:6], v5
	v_mul_f32_e32 v0, v72, v0
	v_fma_f32 v0, v71, v1, -v0
	v_cvt_f64_f32_e32 v[0:1], v0
	v_mul_f64 v[5:6], v[5:6], s[2:3]
	v_mul_f64 v[0:1], v[0:1], s[2:3]
	v_mad_u64_u32 v[9:10], s[4:5], s11, v62, v[4:5]
	v_mov_b32_e32 v4, v8
	v_mad_u64_u32 v[10:11], s[4:5], s9, v76, v[4:5]
	v_mov_b32_e32 v13, v9
	v_mul_f32_e32 v9, v70, v3
	v_fmac_f32_e32 v9, v69, v2
	v_mov_b32_e32 v8, v10
	v_cvt_f64_f32_e32 v[9:10], v9
	v_cvt_f32_f64_e32 v4, v[5:6]
	v_cvt_f32_f64_e32 v5, v[0:1]
	v_lshlrev_b64 v[0:1], 3, v[12:13]
	v_mov_b32_e32 v6, s7
	v_add_co_u32_e32 v11, vcc, s6, v0
	v_mul_f32_e32 v2, v70, v2
	v_addc_co_u32_e32 v12, vcc, v6, v1, vcc
	v_mul_f64 v[0:1], v[9:10], s[2:3]
	v_fma_f32 v2, v69, v3, -v2
	v_cvt_f64_f32_e32 v[2:3], v2
	v_lshlrev_b64 v[6:7], 3, v[7:8]
	s_mul_i32 s4, s9, 0xf5
	v_add_co_u32_e32 v6, vcc, v11, v6
	v_mul_f64 v[8:9], v[2:3], s[2:3]
	v_addc_co_u32_e32 v7, vcc, v12, v7, vcc
	global_store_dwordx2 v[6:7], v[4:5], off
	v_cvt_f32_f64_e32 v4, v[0:1]
	v_add_u32_e32 v0, 0xf00, v75
	ds_read2_b64 v[0:3], v0 offset0:10 offset1:255
	s_mul_hi_u32 s5, s8, 0xf5
	v_cvt_f32_f64_e32 v5, v[8:9]
	s_add_i32 s5, s5, s4
	s_mul_i32 s4, s8, 0xf5
	s_waitcnt lgkmcnt(0)
	v_mul_f32_e32 v8, v68, v1
	v_fmac_f32_e32 v8, v67, v0
	v_cvt_f64_f32_e32 v[8:9], v8
	v_mul_f32_e32 v0, v68, v0
	v_fma_f32 v0, v67, v1, -v0
	v_cvt_f64_f32_e32 v[0:1], v0
	v_mul_f64 v[8:9], v[8:9], s[2:3]
	s_lshl_b64 s[4:5], s[4:5], 3
	v_mov_b32_e32 v12, s5
	v_mul_f64 v[0:1], v[0:1], s[2:3]
	v_add_co_u32_e32 v6, vcc, s4, v6
	v_addc_co_u32_e32 v7, vcc, v7, v12, vcc
	global_store_dwordx2 v[6:7], v[4:5], off
	v_cvt_f32_f64_e32 v4, v[8:9]
	ds_read_b64 v[8:9], v75 offset:7840
	v_cvt_f32_f64_e32 v5, v[0:1]
	v_mul_f32_e32 v0, v66, v3
	v_fmac_f32_e32 v0, v65, v2
	v_mul_f32_e32 v2, v66, v2
	v_fma_f32 v2, v65, v3, -v2
	s_waitcnt lgkmcnt(0)
	v_mul_f32_e32 v10, v64, v9
	v_cvt_f64_f32_e32 v[0:1], v0
	v_cvt_f64_f32_e32 v[2:3], v2
	v_fmac_f32_e32 v10, v63, v8
	v_mul_f32_e32 v8, v64, v8
	v_fma_f32 v8, v63, v9, -v8
	v_cvt_f64_f32_e32 v[10:11], v10
	v_cvt_f64_f32_e32 v[8:9], v8
	v_add_co_u32_e32 v6, vcc, s4, v6
	v_mul_f64 v[0:1], v[0:1], s[2:3]
	v_mul_f64 v[2:3], v[2:3], s[2:3]
	v_addc_co_u32_e32 v7, vcc, v7, v12, vcc
	global_store_dwordx2 v[6:7], v[4:5], off
	v_mul_f64 v[4:5], v[10:11], s[2:3]
	v_mul_f64 v[8:9], v[8:9], s[2:3]
	v_cvt_f32_f64_e32 v0, v[0:1]
	v_cvt_f32_f64_e32 v1, v[2:3]
	v_add_co_u32_e32 v2, vcc, s4, v6
	v_addc_co_u32_e32 v3, vcc, v7, v12, vcc
	v_cvt_f32_f64_e32 v4, v[4:5]
	v_cvt_f32_f64_e32 v5, v[8:9]
	global_store_dwordx2 v[2:3], v[0:1], off
	v_add_co_u32_e32 v0, vcc, s4, v2
	v_addc_co_u32_e32 v1, vcc, v3, v12, vcc
	global_store_dwordx2 v[0:1], v[4:5], off
	s_and_b64 exec, exec, s[0:1]
	s_cbranch_execz .LBB0_23
; %bb.22:
	s_movk_i32 s0, 0x1000
	v_add_co_u32_e32 v2, vcc, s0, v60
	global_load_dwordx2 v[8:9], v[60:61], off offset:1400
	global_load_dwordx2 v[10:11], v[60:61], off offset:3360
	s_movk_i32 s1, 0x2000
	v_addc_co_u32_e32 v3, vcc, 0, v61, vcc
	global_load_dwordx2 v[12:13], v[2:3], off offset:1224
	global_load_dwordx2 v[14:15], v[2:3], off offset:3184
	v_add_co_u32_e32 v2, vcc, s1, v60
	v_addc_co_u32_e32 v3, vcc, 0, v61, vcc
	global_load_dwordx2 v[16:17], v[2:3], off offset:1048
	v_add_u32_e32 v2, 0x540, v75
	v_mov_b32_e32 v3, 0xffffe6d8
	v_mad_u64_u32 v[20:21], s[0:1], s8, v3, v[0:1]
	ds_read2_b64 v[0:3], v2 offset0:7 offset1:252
	v_add_u32_e32 v4, 0x1480, v75
	ds_read2_b64 v[4:7], v4 offset0:9 offset1:254
	ds_read_b64 v[18:19], v75 offset:9240
	s_mul_i32 s6, s9, 0xffffe6d8
	s_sub_i32 s0, s6, s8
	v_mov_b32_e32 v29, s5
	v_add_u32_e32 v21, s0, v21
	v_add_co_u32_e32 v22, vcc, s4, v20
	v_addc_co_u32_e32 v23, vcc, v21, v29, vcc
	v_add_co_u32_e32 v24, vcc, s4, v22
	v_addc_co_u32_e32 v25, vcc, v23, v29, vcc
	;; [unrolled: 2-line block ×4, first 2 shown]
	s_waitcnt vmcnt(4) lgkmcnt(2)
	v_mul_f32_e32 v30, v1, v9
	v_mul_f32_e32 v9, v0, v9
	s_waitcnt vmcnt(3)
	v_mul_f32_e32 v31, v3, v11
	v_mul_f32_e32 v11, v2, v11
	v_fmac_f32_e32 v30, v0, v8
	v_fma_f32 v8, v8, v1, -v9
	v_fmac_f32_e32 v31, v2, v10
	v_fma_f32 v10, v10, v3, -v11
	v_cvt_f64_f32_e32 v[0:1], v30
	v_cvt_f64_f32_e32 v[2:3], v8
	s_waitcnt vmcnt(2) lgkmcnt(1)
	v_mul_f32_e32 v30, v5, v13
	v_mul_f32_e32 v13, v4, v13
	v_cvt_f64_f32_e32 v[8:9], v31
	v_cvt_f64_f32_e32 v[10:11], v10
	s_waitcnt vmcnt(1)
	v_mul_f32_e32 v31, v7, v15
	v_mul_f32_e32 v15, v6, v15
	v_fmac_f32_e32 v30, v4, v12
	v_fma_f32 v12, v12, v5, -v13
	s_waitcnt vmcnt(0) lgkmcnt(0)
	v_mul_f32_e32 v32, v19, v17
	v_mul_f32_e32 v17, v18, v17
	v_fmac_f32_e32 v31, v6, v14
	v_fma_f32 v14, v14, v7, -v15
	v_cvt_f64_f32_e32 v[4:5], v30
	v_cvt_f64_f32_e32 v[6:7], v12
	v_fmac_f32_e32 v32, v18, v16
	v_fma_f32 v18, v16, v19, -v17
	v_cvt_f64_f32_e32 v[12:13], v31
	v_cvt_f64_f32_e32 v[14:15], v14
	;; [unrolled: 1-line block ×4, first 2 shown]
	v_mul_f64 v[0:1], v[0:1], s[2:3]
	v_mul_f64 v[2:3], v[2:3], s[2:3]
	;; [unrolled: 1-line block ×10, first 2 shown]
	v_cvt_f32_f64_e32 v0, v[0:1]
	v_cvt_f32_f64_e32 v1, v[2:3]
	;; [unrolled: 1-line block ×10, first 2 shown]
	global_store_dwordx2 v[20:21], v[0:1], off
	global_store_dwordx2 v[22:23], v[2:3], off
	;; [unrolled: 1-line block ×5, first 2 shown]
.LBB0_23:
	s_endpgm
	.section	.rodata,"a",@progbits
	.p2align	6, 0x0
	.amdhsa_kernel bluestein_single_back_len1225_dim1_sp_op_CI_CI
		.amdhsa_group_segment_fixed_size 9800
		.amdhsa_private_segment_fixed_size 0
		.amdhsa_kernarg_size 104
		.amdhsa_user_sgpr_count 6
		.amdhsa_user_sgpr_private_segment_buffer 1
		.amdhsa_user_sgpr_dispatch_ptr 0
		.amdhsa_user_sgpr_queue_ptr 0
		.amdhsa_user_sgpr_kernarg_segment_ptr 1
		.amdhsa_user_sgpr_dispatch_id 0
		.amdhsa_user_sgpr_flat_scratch_init 0
		.amdhsa_user_sgpr_private_segment_size 0
		.amdhsa_uses_dynamic_stack 0
		.amdhsa_system_sgpr_private_segment_wavefront_offset 0
		.amdhsa_system_sgpr_workgroup_id_x 1
		.amdhsa_system_sgpr_workgroup_id_y 0
		.amdhsa_system_sgpr_workgroup_id_z 0
		.amdhsa_system_sgpr_workgroup_info 0
		.amdhsa_system_vgpr_workitem_id 0
		.amdhsa_next_free_vgpr 97
		.amdhsa_next_free_sgpr 22
		.amdhsa_reserve_vcc 1
		.amdhsa_reserve_flat_scratch 0
		.amdhsa_float_round_mode_32 0
		.amdhsa_float_round_mode_16_64 0
		.amdhsa_float_denorm_mode_32 3
		.amdhsa_float_denorm_mode_16_64 3
		.amdhsa_dx10_clamp 1
		.amdhsa_ieee_mode 1
		.amdhsa_fp16_overflow 0
		.amdhsa_exception_fp_ieee_invalid_op 0
		.amdhsa_exception_fp_denorm_src 0
		.amdhsa_exception_fp_ieee_div_zero 0
		.amdhsa_exception_fp_ieee_overflow 0
		.amdhsa_exception_fp_ieee_underflow 0
		.amdhsa_exception_fp_ieee_inexact 0
		.amdhsa_exception_int_div_zero 0
	.end_amdhsa_kernel
	.text
.Lfunc_end0:
	.size	bluestein_single_back_len1225_dim1_sp_op_CI_CI, .Lfunc_end0-bluestein_single_back_len1225_dim1_sp_op_CI_CI
                                        ; -- End function
	.section	.AMDGPU.csdata,"",@progbits
; Kernel info:
; codeLenInByte = 9236
; NumSgprs: 26
; NumVgprs: 97
; ScratchSize: 0
; MemoryBound: 0
; FloatMode: 240
; IeeeMode: 1
; LDSByteSize: 9800 bytes/workgroup (compile time only)
; SGPRBlocks: 3
; VGPRBlocks: 24
; NumSGPRsForWavesPerEU: 26
; NumVGPRsForWavesPerEU: 97
; Occupancy: 2
; WaveLimiterHint : 1
; COMPUTE_PGM_RSRC2:SCRATCH_EN: 0
; COMPUTE_PGM_RSRC2:USER_SGPR: 6
; COMPUTE_PGM_RSRC2:TRAP_HANDLER: 0
; COMPUTE_PGM_RSRC2:TGID_X_EN: 1
; COMPUTE_PGM_RSRC2:TGID_Y_EN: 0
; COMPUTE_PGM_RSRC2:TGID_Z_EN: 0
; COMPUTE_PGM_RSRC2:TIDIG_COMP_CNT: 0
	.type	__hip_cuid_9a35cacd077b0e12,@object ; @__hip_cuid_9a35cacd077b0e12
	.section	.bss,"aw",@nobits
	.globl	__hip_cuid_9a35cacd077b0e12
__hip_cuid_9a35cacd077b0e12:
	.byte	0                               ; 0x0
	.size	__hip_cuid_9a35cacd077b0e12, 1

	.ident	"AMD clang version 19.0.0git (https://github.com/RadeonOpenCompute/llvm-project roc-6.4.0 25133 c7fe45cf4b819c5991fe208aaa96edf142730f1d)"
	.section	".note.GNU-stack","",@progbits
	.addrsig
	.addrsig_sym __hip_cuid_9a35cacd077b0e12
	.amdgpu_metadata
---
amdhsa.kernels:
  - .args:
      - .actual_access:  read_only
        .address_space:  global
        .offset:         0
        .size:           8
        .value_kind:     global_buffer
      - .actual_access:  read_only
        .address_space:  global
        .offset:         8
        .size:           8
        .value_kind:     global_buffer
      - .actual_access:  read_only
        .address_space:  global
        .offset:         16
        .size:           8
        .value_kind:     global_buffer
      - .actual_access:  read_only
        .address_space:  global
        .offset:         24
        .size:           8
        .value_kind:     global_buffer
      - .actual_access:  read_only
        .address_space:  global
        .offset:         32
        .size:           8
        .value_kind:     global_buffer
      - .offset:         40
        .size:           8
        .value_kind:     by_value
      - .address_space:  global
        .offset:         48
        .size:           8
        .value_kind:     global_buffer
      - .address_space:  global
        .offset:         56
        .size:           8
        .value_kind:     global_buffer
      - .address_space:  global
        .offset:         64
        .size:           8
        .value_kind:     global_buffer
      - .address_space:  global
        .offset:         72
        .size:           8
        .value_kind:     global_buffer
      - .offset:         80
        .size:           4
        .value_kind:     by_value
      - .address_space:  global
        .offset:         88
        .size:           8
        .value_kind:     global_buffer
      - .address_space:  global
        .offset:         96
        .size:           8
        .value_kind:     global_buffer
    .group_segment_fixed_size: 9800
    .kernarg_segment_align: 8
    .kernarg_segment_size: 104
    .language:       OpenCL C
    .language_version:
      - 2
      - 0
    .max_flat_workgroup_size: 175
    .name:           bluestein_single_back_len1225_dim1_sp_op_CI_CI
    .private_segment_fixed_size: 0
    .sgpr_count:     26
    .sgpr_spill_count: 0
    .symbol:         bluestein_single_back_len1225_dim1_sp_op_CI_CI.kd
    .uniform_work_group_size: 1
    .uses_dynamic_stack: false
    .vgpr_count:     97
    .vgpr_spill_count: 0
    .wavefront_size: 64
amdhsa.target:   amdgcn-amd-amdhsa--gfx906
amdhsa.version:
  - 1
  - 2
...

	.end_amdgpu_metadata
